;; amdgpu-corpus repo=ROCm/rocFFT kind=compiled arch=gfx1030 opt=O3
	.text
	.amdgcn_target "amdgcn-amd-amdhsa--gfx1030"
	.amdhsa_code_object_version 6
	.protected	fft_rtc_fwd_len216_factors_6_6_6_wgs_324_tpt_36_dp_op_CI_CI_sbcc_dirReg_intrinsicReadWrite ; -- Begin function fft_rtc_fwd_len216_factors_6_6_6_wgs_324_tpt_36_dp_op_CI_CI_sbcc_dirReg_intrinsicReadWrite
	.globl	fft_rtc_fwd_len216_factors_6_6_6_wgs_324_tpt_36_dp_op_CI_CI_sbcc_dirReg_intrinsicReadWrite
	.p2align	8
	.type	fft_rtc_fwd_len216_factors_6_6_6_wgs_324_tpt_36_dp_op_CI_CI_sbcc_dirReg_intrinsicReadWrite,@function
fft_rtc_fwd_len216_factors_6_6_6_wgs_324_tpt_36_dp_op_CI_CI_sbcc_dirReg_intrinsicReadWrite: ; @fft_rtc_fwd_len216_factors_6_6_6_wgs_324_tpt_36_dp_op_CI_CI_sbcc_dirReg_intrinsicReadWrite
; %bb.0:
	s_clause 0x1
	s_load_dwordx4 s[12:15], s[4:5], 0x18
	s_load_dwordx2 s[24:25], s[4:5], 0x28
	s_mov_b64 s[26:27], 0
	s_waitcnt lgkmcnt(0)
	s_load_dwordx2 s[22:23], s[12:13], 0x8
	s_waitcnt lgkmcnt(0)
	s_add_u32 s0, s22, -1
	s_addc_u32 s1, s23, -1
	s_add_u32 s2, 0, 0x71c4fc00
	s_addc_u32 s3, 0, 0x7c
	s_mul_hi_u32 s8, s2, -9
	s_add_i32 s3, s3, 0x1c71c6a0
	s_sub_i32 s8, s8, s2
	s_mul_i32 s10, s3, -9
	s_mul_i32 s7, s2, -9
	s_add_i32 s8, s8, s10
	s_mul_hi_u32 s9, s2, s7
	s_mul_i32 s16, s2, s8
	s_mul_hi_u32 s10, s2, s8
	s_mul_hi_u32 s11, s3, s7
	s_mul_i32 s7, s3, s7
	s_add_u32 s9, s9, s16
	s_addc_u32 s10, 0, s10
	s_mul_hi_u32 s17, s3, s8
	s_add_u32 s7, s9, s7
	s_mul_i32 s8, s3, s8
	s_addc_u32 s7, s10, s11
	s_addc_u32 s9, s17, 0
	s_add_u32 s7, s7, s8
	v_add_co_u32 v1, s2, s2, s7
	s_addc_u32 s7, 0, s9
	s_cmp_lg_u32 s2, 0
	s_addc_u32 s2, s3, s7
	v_readfirstlane_b32 s3, v1
	s_mul_i32 s8, s0, s2
	s_mul_hi_u32 s7, s0, s2
	s_mul_hi_u32 s9, s1, s2
	s_mul_i32 s2, s1, s2
	s_mul_hi_u32 s10, s0, s3
	s_mul_hi_u32 s11, s1, s3
	s_mul_i32 s3, s1, s3
	s_add_u32 s8, s10, s8
	s_addc_u32 s7, 0, s7
	s_add_u32 s3, s8, s3
	s_addc_u32 s3, s7, s11
	s_addc_u32 s7, s9, 0
	s_add_u32 s2, s3, s2
	s_addc_u32 s3, 0, s7
	s_mul_i32 s8, s2, 9
	s_add_u32 s7, s2, 1
	v_sub_co_u32 v1, s0, s0, s8
	s_mul_hi_u32 s8, s2, 9
	s_addc_u32 s9, s3, 0
	s_mul_i32 s10, s3, 9
	v_sub_co_u32 v2, s11, v1, 9
	s_add_u32 s16, s2, 2
	s_addc_u32 s17, s3, 0
	s_add_i32 s8, s8, s10
	s_cmp_lg_u32 s0, 0
	v_readfirstlane_b32 s0, v2
	s_subb_u32 s1, s1, s8
	s_cmp_lg_u32 s11, 0
	s_subb_u32 s8, s1, 0
	s_cmp_gt_u32 s0, 8
	s_cselect_b32 s0, -1, 0
	s_cmp_eq_u32 s8, 0
	v_readfirstlane_b32 s8, v1
	s_cselect_b32 s0, s0, -1
	s_cmp_lg_u32 s0, 0
	s_cselect_b32 s0, s16, s7
	s_cselect_b32 s9, s17, s9
	s_cmp_gt_u32 s8, 8
	s_cselect_b32 s7, -1, 0
	s_cmp_eq_u32 s1, 0
	s_cselect_b32 s1, s7, -1
	s_mov_b32 s7, 0
	s_cmp_lg_u32 s1, 0
	s_cselect_b32 s0, s0, s2
	s_cselect_b32 s1, s9, s3
	s_add_u32 s28, s0, 1
	s_addc_u32 s29, s1, 0
	v_cmp_lt_u64_e64 s0, s[6:7], s[28:29]
	s_and_b32 vcc_lo, exec_lo, s0
	s_cbranch_vccnz .LBB0_2
; %bb.1:
	v_cvt_f32_u32_e32 v1, s28
	s_sub_i32 s1, 0, s28
	s_mov_b32 s27, s7
	v_rcp_iflag_f32_e32 v1, v1
	v_mul_f32_e32 v1, 0x4f7ffffe, v1
	v_cvt_u32_f32_e32 v1, v1
	v_readfirstlane_b32 s0, v1
	s_mul_i32 s1, s1, s0
	s_mul_hi_u32 s1, s0, s1
	s_add_i32 s0, s0, s1
	s_mul_hi_u32 s0, s6, s0
	s_mul_i32 s1, s0, s28
	s_add_i32 s2, s0, 1
	s_sub_i32 s1, s6, s1
	s_sub_i32 s3, s1, s28
	s_cmp_ge_u32 s1, s28
	s_cselect_b32 s0, s2, s0
	s_cselect_b32 s1, s3, s1
	s_add_i32 s2, s0, 1
	s_cmp_ge_u32 s1, s28
	s_cselect_b32 s26, s2, s0
.LBB0_2:
	s_load_dwordx4 s[16:19], s[14:15], 0x0
	s_load_dwordx4 s[8:11], s[24:25], 0x0
	s_clause 0x1
	s_load_dwordx2 s[30:31], s[4:5], 0x10
	s_load_dwordx2 s[20:21], s[4:5], 0x0
	s_mul_i32 s0, s26, s29
	s_mul_hi_u32 s1, s26, s28
	s_mul_i32 s2, s26, s28
	s_add_i32 s1, s1, s0
	s_sub_u32 s33, s6, s2
	s_subb_u32 s0, 0, s1
	s_waitcnt lgkmcnt(0)
	s_mul_hi_u32 s17, s33, 9
	s_mul_i32 s9, s0, 9
	s_load_dwordx4 s[0:3], s[4:5], 0x60
	s_add_i32 s17, s17, s9
	s_mul_i32 s33, s33, 9
	s_mul_i32 s4, s18, s17
	s_mul_hi_u32 s5, s18, s33
	v_cmp_lt_u64_e64 s36, s[30:31], 3
	s_mul_i32 s9, s19, s33
	s_mul_i32 s19, s10, s17
	s_mul_hi_u32 s34, s10, s33
	s_mul_i32 s35, s11, s33
	s_add_i32 s4, s5, s4
	s_add_i32 s5, s34, s19
	;; [unrolled: 1-line block ×3, first 2 shown]
	s_mul_i32 s11, s18, s33
	s_add_i32 s44, s5, s35
	s_and_b32 vcc_lo, exec_lo, s36
	s_mul_i32 s9, s10, s33
	s_cbranch_vccnz .LBB0_12
; %bb.3:
	s_add_u32 s4, s24, 16
	s_addc_u32 s5, s25, 0
	s_add_u32 s34, s14, 16
	s_addc_u32 s35, s15, 0
	;; [unrolled: 2-line block ×3, first 2 shown]
	s_mov_b64 s[36:37], 2
	s_mov_b32 s38, 0
.LBB0_4:                                ; =>This Inner Loop Header: Depth=1
	s_load_dwordx2 s[40:41], s[12:13], 0x0
	s_waitcnt lgkmcnt(0)
	s_or_b64 s[42:43], s[26:27], s[40:41]
	s_mov_b32 s39, s43
                                        ; implicit-def: $sgpr42_sgpr43
	s_cmp_lg_u64 s[38:39], 0
	s_mov_b32 s39, -1
	s_cbranch_scc0 .LBB0_6
; %bb.5:                                ;   in Loop: Header=BB0_4 Depth=1
	v_cvt_f32_u32_e32 v1, s40
	v_cvt_f32_u32_e32 v2, s41
	s_sub_u32 s43, 0, s40
	s_subb_u32 s45, 0, s41
	v_fmac_f32_e32 v1, 0x4f800000, v2
	v_rcp_f32_e32 v1, v1
	v_mul_f32_e32 v1, 0x5f7ffffc, v1
	v_mul_f32_e32 v2, 0x2f800000, v1
	v_trunc_f32_e32 v2, v2
	v_fmac_f32_e32 v1, 0xcf800000, v2
	v_cvt_u32_f32_e32 v2, v2
	v_cvt_u32_f32_e32 v1, v1
	v_readfirstlane_b32 s39, v2
	v_readfirstlane_b32 s42, v1
	s_mul_i32 s46, s43, s39
	s_mul_hi_u32 s48, s43, s42
	s_mul_i32 s47, s45, s42
	s_add_i32 s46, s48, s46
	s_mul_i32 s49, s43, s42
	s_add_i32 s46, s46, s47
	s_mul_hi_u32 s48, s42, s49
	s_mul_hi_u32 s50, s39, s49
	s_mul_i32 s47, s39, s49
	s_mul_hi_u32 s49, s42, s46
	s_mul_i32 s42, s42, s46
	s_mul_hi_u32 s51, s39, s46
	s_add_u32 s42, s48, s42
	s_addc_u32 s48, 0, s49
	s_add_u32 s42, s42, s47
	s_mul_i32 s46, s39, s46
	s_addc_u32 s42, s48, s50
	s_addc_u32 s47, s51, 0
	s_add_u32 s42, s42, s46
	s_addc_u32 s46, 0, s47
	v_add_co_u32 v1, s42, v1, s42
	s_cmp_lg_u32 s42, 0
	s_addc_u32 s39, s39, s46
	v_readfirstlane_b32 s42, v1
	s_mul_i32 s46, s43, s39
	s_mul_hi_u32 s47, s43, s42
	s_mul_i32 s45, s45, s42
	s_add_i32 s46, s47, s46
	s_mul_i32 s43, s43, s42
	s_add_i32 s46, s46, s45
	s_mul_hi_u32 s47, s39, s43
	s_mul_i32 s48, s39, s43
	s_mul_hi_u32 s43, s42, s43
	s_mul_hi_u32 s49, s42, s46
	s_mul_i32 s42, s42, s46
	s_mul_hi_u32 s45, s39, s46
	s_add_u32 s42, s43, s42
	s_addc_u32 s43, 0, s49
	s_add_u32 s42, s42, s48
	s_mul_i32 s46, s39, s46
	s_addc_u32 s42, s43, s47
	s_addc_u32 s43, s45, 0
	s_add_u32 s42, s42, s46
	s_addc_u32 s43, 0, s43
	v_add_co_u32 v1, s42, v1, s42
	s_cmp_lg_u32 s42, 0
	s_addc_u32 s39, s39, s43
	v_readfirstlane_b32 s42, v1
	s_mul_i32 s45, s26, s39
	s_mul_hi_u32 s43, s26, s39
	s_mul_hi_u32 s46, s27, s39
	s_mul_i32 s39, s27, s39
	s_mul_hi_u32 s47, s26, s42
	s_mul_hi_u32 s48, s27, s42
	s_mul_i32 s42, s27, s42
	s_add_u32 s45, s47, s45
	s_addc_u32 s43, 0, s43
	s_add_u32 s42, s45, s42
	s_addc_u32 s42, s43, s48
	s_addc_u32 s43, s46, 0
	s_add_u32 s42, s42, s39
	s_addc_u32 s43, 0, s43
	s_mul_hi_u32 s39, s40, s42
	s_mul_i32 s46, s40, s43
	s_mul_i32 s47, s40, s42
	s_add_i32 s39, s39, s46
	v_sub_co_u32 v1, s46, s26, s47
	s_mul_i32 s45, s41, s42
	s_add_i32 s39, s39, s45
	v_sub_co_u32 v2, s47, v1, s40
	s_sub_i32 s45, s27, s39
	s_cmp_lg_u32 s46, 0
	s_subb_u32 s45, s45, s41
	s_cmp_lg_u32 s47, 0
	v_readfirstlane_b32 s47, v2
	s_subb_u32 s45, s45, 0
	s_cmp_ge_u32 s45, s41
	s_cselect_b32 s48, -1, 0
	s_cmp_ge_u32 s47, s40
	s_cselect_b32 s47, -1, 0
	s_cmp_eq_u32 s45, s41
	s_cselect_b32 s45, s47, s48
	s_add_u32 s47, s42, 1
	s_addc_u32 s48, s43, 0
	s_add_u32 s49, s42, 2
	s_addc_u32 s50, s43, 0
	s_cmp_lg_u32 s45, 0
	s_cselect_b32 s45, s49, s47
	s_cselect_b32 s47, s50, s48
	s_cmp_lg_u32 s46, 0
	v_readfirstlane_b32 s46, v1
	s_subb_u32 s39, s27, s39
	s_cmp_ge_u32 s39, s41
	s_cselect_b32 s48, -1, 0
	s_cmp_ge_u32 s46, s40
	s_cselect_b32 s46, -1, 0
	s_cmp_eq_u32 s39, s41
	s_cselect_b32 s39, s46, s48
	s_cmp_lg_u32 s39, 0
	s_mov_b32 s39, 0
	s_cselect_b32 s43, s47, s43
	s_cselect_b32 s42, s45, s42
.LBB0_6:                                ;   in Loop: Header=BB0_4 Depth=1
	s_andn2_b32 vcc_lo, exec_lo, s39
	s_cbranch_vccnz .LBB0_8
; %bb.7:                                ;   in Loop: Header=BB0_4 Depth=1
	v_cvt_f32_u32_e32 v1, s40
	s_sub_i32 s42, 0, s40
	v_rcp_iflag_f32_e32 v1, v1
	v_mul_f32_e32 v1, 0x4f7ffffe, v1
	v_cvt_u32_f32_e32 v1, v1
	v_readfirstlane_b32 s39, v1
	s_mul_i32 s42, s42, s39
	s_mul_hi_u32 s42, s39, s42
	s_add_i32 s39, s39, s42
	s_mul_hi_u32 s39, s26, s39
	s_mul_i32 s42, s39, s40
	s_add_i32 s43, s39, 1
	s_sub_i32 s42, s26, s42
	s_sub_i32 s45, s42, s40
	s_cmp_ge_u32 s42, s40
	s_cselect_b32 s39, s43, s39
	s_cselect_b32 s42, s45, s42
	s_add_i32 s43, s39, 1
	s_cmp_ge_u32 s42, s40
	s_cselect_b32 s42, s43, s39
	s_mov_b32 s43, s38
.LBB0_8:                                ;   in Loop: Header=BB0_4 Depth=1
	s_load_dwordx2 s[46:47], s[34:35], 0x0
	s_load_dwordx2 s[48:49], s[4:5], 0x0
	s_mul_i32 s29, s40, s29
	s_mul_hi_u32 s39, s40, s28
	s_mul_i32 s45, s41, s28
	s_mul_i32 s41, s42, s41
	s_mul_hi_u32 s50, s42, s40
	s_mul_i32 s51, s43, s40
	s_add_i32 s29, s39, s29
	s_add_i32 s39, s50, s41
	s_mul_i32 s52, s42, s40
	s_add_i32 s29, s29, s45
	s_add_i32 s39, s39, s51
	s_sub_u32 s26, s26, s52
	s_subb_u32 s27, s27, s39
	s_mul_i32 s28, s40, s28
	s_waitcnt lgkmcnt(0)
	s_mul_i32 s39, s46, s27
	s_mul_hi_u32 s41, s46, s26
	s_mul_i32 s45, s47, s26
	s_add_i32 s39, s41, s39
	s_mul_i32 s46, s46, s26
	s_mul_i32 s27, s48, s27
	s_mul_hi_u32 s41, s48, s26
	s_add_i32 s39, s39, s45
	s_add_u32 s11, s46, s11
	s_addc_u32 s19, s39, s19
	s_add_i32 s27, s41, s27
	s_mul_i32 s39, s49, s26
	s_mul_i32 s26, s48, s26
	s_add_i32 s27, s27, s39
	s_add_u32 s9, s26, s9
	s_addc_u32 s44, s27, s44
	s_add_u32 s36, s36, 1
	s_addc_u32 s37, s37, 0
	s_add_u32 s4, s4, 8
	v_cmp_ge_u64_e64 s26, s[36:37], s[30:31]
	s_addc_u32 s5, s5, 0
	s_add_u32 s34, s34, 8
	s_addc_u32 s35, s35, 0
	s_add_u32 s12, s12, 8
	s_addc_u32 s13, s13, 0
	s_and_b32 vcc_lo, exec_lo, s26
	s_cbranch_vccnz .LBB0_10
; %bb.9:                                ;   in Loop: Header=BB0_4 Depth=1
	s_mov_b64 s[26:27], s[42:43]
	s_branch .LBB0_4
.LBB0_10:
	v_cmp_lt_u64_e64 s4, s[6:7], s[28:29]
	s_mov_b64 s[26:27], 0
	s_and_b32 vcc_lo, exec_lo, s4
	s_cbranch_vccnz .LBB0_12
; %bb.11:
	v_cvt_f32_u32_e32 v1, s28
	s_sub_i32 s5, 0, s28
	v_rcp_iflag_f32_e32 v1, v1
	v_mul_f32_e32 v1, 0x4f7ffffe, v1
	v_cvt_u32_f32_e32 v1, v1
	v_readfirstlane_b32 s4, v1
	s_mul_i32 s5, s5, s4
	s_mul_hi_u32 s5, s4, s5
	s_add_i32 s4, s4, s5
	s_mul_hi_u32 s4, s6, s4
	s_mul_i32 s5, s4, s28
	s_sub_i32 s5, s6, s5
	s_add_i32 s6, s4, 1
	s_sub_i32 s7, s5, s28
	s_cmp_ge_u32 s5, s28
	s_cselect_b32 s4, s6, s4
	s_cselect_b32 s5, s7, s5
	s_add_i32 s6, s4, 1
	s_cmp_ge_u32 s5, s28
	s_cselect_b32 s26, s6, s4
.LBB0_12:
	s_lshl_b64 s[4:5], s[30:31], 3
	v_mul_u32_u24_e32 v1, 0x1c72, v0
	s_add_u32 s6, s14, s4
	s_addc_u32 s7, s15, s5
	s_load_dword s6, s[6:7], 0x0
	v_lshrrev_b32_e32 v2, 16, v1
	s_mov_b32 s7, 0x31014000
	v_mul_lo_u16 v1, v2, 9
	v_add_nc_u32_e32 v3, 0x6c, v2
	v_add_nc_u32_e32 v6, 0xb4, v2
	v_mul_lo_u32 v5, s16, v2
	v_add_nc_u32_e32 v11, 36, v2
	v_sub_nc_u16 v1, v0, v1
	v_mul_lo_u32 v7, s16, v3
	v_mul_lo_u32 v6, s16, v6
	v_add_nc_u32_e32 v12, 0x48, v2
	v_mul_lo_u32 v11, s16, v11
	v_and_b32_e32 v1, 0xffff, v1
	v_add_nc_u32_e32 v13, 0x90, v2
	v_mul_u32_u24_e32 v0, 0x195, v0
	v_mul_lo_u32 v16, s16, v12
	s_waitcnt lgkmcnt(0)
	s_mul_i32 s6, s6, s26
	v_mul_lo_u32 v15, s18, v1
	s_add_i32 s11, s6, s11
	s_add_u32 s4, s24, s4
	s_addc_u32 s5, s25, s5
	s_mov_b32 s6, -2
	s_load_dword s4, s[4:5], 0x0
	v_add_co_u32 v3, s5, s33, v1
	v_add_co_ci_u32_e64 v4, null, s17, 0, s5
	v_add_lshl_u32 v11, v15, v11, 4
	v_mul_lo_u32 v17, s16, v13
	v_add_lshl_u32 v16, v15, v16, 4
	v_cmp_gt_u64_e32 vcc_lo, s[22:23], v[3:4]
	v_add_lshl_u32 v3, v15, v5, 4
	v_add_lshl_u32 v4, v15, v7, 4
	;; [unrolled: 1-line block ×3, first 2 shown]
	v_lshlrev_b32_e32 v51, 4, v1
	v_lshrrev_b32_e32 v0, 17, v0
	v_add_lshl_u32 v15, v15, v17, 4
	v_mul_lo_u16 v0, 0xd8, v0
	s_waitcnt lgkmcnt(0)
	s_mul_i32 s4, s4, s26
	s_add_i32 s9, s4, s9
	s_add_u32 s4, s33, 9
	s_addc_u32 s5, s17, 0
	v_cmp_le_u64_e64 s5, s[4:5], s[22:23]
	s_mov_b32 s4, s0
	s_lshl_b32 s0, s11, 4
	s_or_b32 vcc_lo, s5, vcc_lo
	s_mov_b32 s5, s1
	v_cndmask_b32_e32 v23, -1, v3, vcc_lo
	v_cndmask_b32_e32 v3, -1, v4, vcc_lo
	;; [unrolled: 1-line block ×5, first 2 shown]
	s_clause 0x1
	buffer_load_dwordx4 v[3:6], v3, s[4:7], s0 offen
	buffer_load_dwordx4 v[7:10], v7, s[4:7], s0 offen
	v_cndmask_b32_e32 v19, -1, v15, vcc_lo
	s_clause 0x3
	buffer_load_dwordx4 v[11:14], v11, s[4:7], s0 offen
	buffer_load_dwordx4 v[15:18], v16, s[4:7], s0 offen
	;; [unrolled: 1-line block ×4, first 2 shown]
	s_mov_b32 s4, 0xe8584caa
	s_mov_b32 s5, 0x3febb67a
	;; [unrolled: 1-line block ×4, first 2 shown]
	s_waitcnt vmcnt(4)
	v_add_f64 v[27:28], v[5:6], v[9:10]
	v_add_f64 v[29:30], v[3:4], v[7:8]
	v_add_f64 v[31:32], v[5:6], -v[9:10]
	v_add_f64 v[33:34], v[3:4], -v[7:8]
	s_waitcnt vmcnt(1)
	v_add_f64 v[35:36], v[15:16], v[19:20]
	v_add_f64 v[37:38], v[17:18], v[21:22]
	;; [unrolled: 1-line block ×4, first 2 shown]
	v_fma_f64 v[27:28], v[27:28], -0.5, v[13:14]
	v_fma_f64 v[29:30], v[29:30], -0.5, v[11:12]
	v_add_f64 v[13:14], v[15:16], -v[19:20]
	s_waitcnt vmcnt(0)
	v_fma_f64 v[11:12], v[35:36], -0.5, v[23:24]
	v_add_f64 v[7:8], v[3:4], v[7:8]
	v_add_f64 v[9:10], v[5:6], v[9:10]
	v_mul_lo_u16 v3, v2, 43
	v_lshrrev_b16 v49, 8, v3
	v_fma_f64 v[39:40], v[33:34], s[0:1], v[27:28]
	v_fma_f64 v[41:42], v[31:32], s[0:1], v[29:30]
	;; [unrolled: 1-line block ×4, first 2 shown]
	v_add_f64 v[31:32], v[23:24], v[15:16]
	v_add_f64 v[33:34], v[17:18], -v[21:22]
	v_add_f64 v[17:18], v[25:26], v[17:18]
	v_fma_f64 v[15:16], v[37:38], -0.5, v[25:26]
	v_mul_f64 v[23:24], v[39:40], s[4:5]
	v_mul_f64 v[25:26], v[41:42], -0.5
	v_mul_f64 v[35:36], v[29:30], s[0:1]
	v_mul_f64 v[37:38], v[27:28], -0.5
	v_add_f64 v[19:20], v[31:32], v[19:20]
	v_fma_f64 v[31:32], v[33:34], s[0:1], v[11:12]
	v_add_f64 v[17:18], v[17:18], v[21:22]
	v_fma_f64 v[21:22], v[33:34], s[4:5], v[11:12]
	v_fma_f64 v[33:34], v[13:14], s[0:1], v[15:16]
	;; [unrolled: 1-line block ×3, first 2 shown]
	v_fma_f64 v[23:24], v[29:30], 0.5, v[23:24]
	v_fma_f64 v[25:26], v[27:28], s[4:5], v[25:26]
	v_fma_f64 v[27:28], v[39:40], 0.5, v[35:36]
	v_fma_f64 v[29:30], v[41:42], s[0:1], v[37:38]
	v_mul_lo_u16 v35, v49, 6
	v_add_f64 v[3:4], v[19:20], v[7:8]
	v_add_f64 v[5:6], v[17:18], v[9:10]
	v_add_f64 v[7:8], v[19:20], -v[7:8]
	v_add_f64 v[9:10], v[17:18], -v[9:10]
	v_add_f64 v[11:12], v[21:22], v[23:24]
	v_add_f64 v[19:20], v[21:22], -v[23:24]
	v_add_f64 v[13:14], v[33:34], v[27:28]
	v_add_f64 v[21:22], v[33:34], -v[27:28]
	v_sub_nc_u16 v27, v2, v35
	v_add_f64 v[15:16], v[31:32], v[25:26]
	v_add_f64 v[17:18], v[43:44], v[29:30]
	v_add_f64 v[23:24], v[31:32], -v[25:26]
	v_add_f64 v[25:26], v[43:44], -v[29:30]
	v_and_b32_e32 v50, 0xff, v27
	v_mul_u32_u24_e32 v28, 0x360, v2
	v_mul_u32_u24_e32 v27, 5, v50
	v_add3_u32 v28, 0, v28, v51
	ds_write_b128 v28, v[3:6]
	ds_write_b128 v28, v[7:10] offset:432
	ds_write_b128 v28, v[11:14] offset:144
	;; [unrolled: 1-line block ×5, first 2 shown]
	v_lshlrev_b32_e32 v27, 4, v27
	s_waitcnt lgkmcnt(0)
	s_barrier
	buffer_gl0_inv
	s_clause 0x4
	global_load_dwordx4 v[3:6], v27, s[20:21] offset:32
	global_load_dwordx4 v[7:10], v27, s[20:21] offset:64
	global_load_dwordx4 v[11:14], v27, s[20:21]
	global_load_dwordx4 v[15:18], v27, s[20:21] offset:16
	global_load_dwordx4 v[19:22], v27, s[20:21] offset:48
	v_mad_i32_i24 v52, 0xfffffd30, v2, v28
	ds_read_b128 v[23:26], v52 offset:15552
	ds_read_b128 v[27:30], v52 offset:25920
	;; [unrolled: 1-line block ×5, first 2 shown]
	s_waitcnt vmcnt(4) lgkmcnt(4)
	v_mul_f64 v[43:44], v[25:26], v[5:6]
	v_mul_f64 v[5:6], v[23:24], v[5:6]
	s_waitcnt vmcnt(3) lgkmcnt(3)
	v_mul_f64 v[45:46], v[27:28], v[9:10]
	v_mul_f64 v[9:10], v[29:30], v[9:10]
	;; [unrolled: 3-line block ×3, first 2 shown]
	v_fma_f64 v[23:24], v[23:24], v[3:4], -v[43:44]
	v_fma_f64 v[25:26], v[25:26], v[3:4], v[5:6]
	v_fma_f64 v[29:30], v[29:30], v[7:8], v[45:46]
	v_fma_f64 v[7:8], v[27:28], v[7:8], -v[9:10]
	s_waitcnt vmcnt(1) lgkmcnt(1)
	v_mul_f64 v[3:4], v[37:38], v[17:18]
	v_mul_f64 v[5:6], v[35:36], v[17:18]
	s_waitcnt vmcnt(0) lgkmcnt(0)
	v_mul_f64 v[9:10], v[41:42], v[21:22]
	v_mul_f64 v[17:18], v[39:40], v[21:22]
	v_fma_f64 v[21:22], v[31:32], v[11:12], -v[47:48]
	v_fma_f64 v[11:12], v[33:34], v[11:12], v[13:14]
	v_add_f64 v[13:14], v[25:26], v[29:30]
	v_add_f64 v[27:28], v[23:24], v[7:8]
	v_fma_f64 v[31:32], v[35:36], v[15:16], -v[3:4]
	v_fma_f64 v[15:16], v[37:38], v[15:16], v[5:6]
	v_fma_f64 v[9:10], v[39:40], v[19:20], -v[9:10]
	v_fma_f64 v[17:18], v[41:42], v[19:20], v[17:18]
	v_add_f64 v[19:20], v[25:26], -v[29:30]
	v_add_f64 v[33:34], v[23:24], -v[7:8]
	ds_read_b128 v[3:6], v52
	s_waitcnt lgkmcnt(0)
	s_barrier
	buffer_gl0_inv
	v_fma_f64 v[13:14], v[13:14], -0.5, v[11:12]
	v_fma_f64 v[27:28], v[27:28], -0.5, v[21:22]
	v_add_f64 v[21:22], v[21:22], v[23:24]
	v_add_f64 v[11:12], v[11:12], v[25:26]
	;; [unrolled: 1-line block ×4, first 2 shown]
	v_add_f64 v[23:24], v[31:32], -v[9:10]
	v_fma_f64 v[39:40], v[33:34], s[0:1], v[13:14]
	v_fma_f64 v[41:42], v[19:20], s[0:1], v[27:28]
	;; [unrolled: 1-line block ×4, first 2 shown]
	v_add_f64 v[27:28], v[3:4], v[31:32]
	v_add_f64 v[33:34], v[15:16], -v[17:18]
	v_add_f64 v[15:16], v[5:6], v[15:16]
	v_fma_f64 v[3:4], v[35:36], -0.5, v[3:4]
	v_fma_f64 v[5:6], v[37:38], -0.5, v[5:6]
	v_add_f64 v[7:8], v[21:22], v[7:8]
	v_add_f64 v[11:12], v[11:12], v[29:30]
	v_mul_f64 v[25:26], v[39:40], s[4:5]
	v_mul_f64 v[31:32], v[41:42], -0.5
	v_mul_f64 v[35:36], v[19:20], s[0:1]
	v_mul_f64 v[37:38], v[13:14], -0.5
	v_add_f64 v[9:10], v[27:28], v[9:10]
	v_add_f64 v[15:16], v[15:16], v[17:18]
	v_fma_f64 v[21:22], v[33:34], s[4:5], v[3:4]
	v_fma_f64 v[29:30], v[23:24], s[0:1], v[5:6]
	;; [unrolled: 1-line block ×4, first 2 shown]
	v_mul_lo_u16 v3, v2, 29
	v_lshrrev_b16 v3, 10, v3
	v_fma_f64 v[19:20], v[19:20], 0.5, v[25:26]
	v_fma_f64 v[23:24], v[13:14], s[4:5], v[31:32]
	v_fma_f64 v[25:26], v[39:40], 0.5, v[35:36]
	v_fma_f64 v[31:32], v[41:42], s[0:1], v[37:38]
	v_mul_lo_u16 v36, v3, 36
	v_add_f64 v[3:4], v[9:10], v[7:8]
	v_add_f64 v[5:6], v[15:16], v[11:12]
	v_add_f64 v[7:8], v[9:10], -v[7:8]
	v_add_f64 v[9:10], v[15:16], -v[11:12]
	v_and_b32_e32 v35, 0xffff, v49
	v_sub_nc_u16 v48, v2, v36
	v_add_nc_u32_sdwa v0, v48, v0 dst_sel:DWORD dst_unused:UNUSED_PAD src0_sel:BYTE_0 src1_sel:WORD_0
	v_add_f64 v[11:12], v[21:22], v[19:20]
	v_add_f64 v[15:16], v[27:28], v[23:24]
	;; [unrolled: 1-line block ×4, first 2 shown]
	v_add_f64 v[19:20], v[21:22], -v[19:20]
	v_add_f64 v[21:22], v[29:30], -v[25:26]
	;; [unrolled: 1-line block ×4, first 2 shown]
	v_mov_b32_e32 v27, 5
	v_mad_u32_u24 v28, v35, 36, v50
	v_mul_u32_u24_sdwa v27, v48, v27 dst_sel:DWORD dst_unused:UNUSED_PAD src0_sel:BYTE_0 src1_sel:DWORD
	v_mul_u32_u24_e32 v2, 0x90, v28
	v_lshlrev_b32_e32 v27, 4, v27
	v_add3_u32 v2, 0, v2, v51
	ds_write_b128 v2, v[3:6]
	ds_write_b128 v2, v[7:10] offset:2592
	ds_write_b128 v2, v[11:14] offset:864
	ds_write_b128 v2, v[15:18] offset:1728
	ds_write_b128 v2, v[19:22] offset:3456
	ds_write_b128 v2, v[23:26] offset:4320
	s_waitcnt lgkmcnt(0)
	s_barrier
	buffer_gl0_inv
	s_clause 0x4
	global_load_dwordx4 v[2:5], v27, s[20:21] offset:512
	global_load_dwordx4 v[6:9], v27, s[20:21] offset:544
	;; [unrolled: 1-line block ×5, first 2 shown]
	ds_read_b128 v[22:25], v52 offset:15552
	ds_read_b128 v[26:29], v52 offset:25920
	;; [unrolled: 1-line block ×5, first 2 shown]
	s_waitcnt vmcnt(4) lgkmcnt(4)
	v_mul_f64 v[42:43], v[24:25], v[4:5]
	v_mul_f64 v[4:5], v[22:23], v[4:5]
	s_waitcnt vmcnt(3) lgkmcnt(3)
	v_mul_f64 v[44:45], v[26:27], v[8:9]
	v_mul_f64 v[8:9], v[28:29], v[8:9]
	s_waitcnt vmcnt(2) lgkmcnt(2)
	v_mul_f64 v[46:47], v[32:33], v[12:13]
	v_mul_f64 v[12:13], v[30:31], v[12:13]
	v_fma_f64 v[22:23], v[22:23], v[2:3], -v[42:43]
	v_fma_f64 v[24:25], v[24:25], v[2:3], v[4:5]
	v_fma_f64 v[28:29], v[28:29], v[6:7], v[44:45]
	v_fma_f64 v[6:7], v[26:27], v[6:7], -v[8:9]
	s_waitcnt vmcnt(1) lgkmcnt(1)
	v_mul_f64 v[2:3], v[36:37], v[16:17]
	v_mul_f64 v[4:5], v[34:35], v[16:17]
	s_waitcnt vmcnt(0) lgkmcnt(0)
	v_mul_f64 v[8:9], v[40:41], v[20:21]
	v_mul_f64 v[16:17], v[38:39], v[20:21]
	v_fma_f64 v[20:21], v[30:31], v[10:11], -v[46:47]
	v_fma_f64 v[10:11], v[32:33], v[10:11], v[12:13]
	v_add_f64 v[12:13], v[24:25], v[28:29]
	v_add_f64 v[26:27], v[22:23], v[6:7]
	v_fma_f64 v[30:31], v[34:35], v[14:15], -v[2:3]
	v_fma_f64 v[14:15], v[36:37], v[14:15], v[4:5]
	v_fma_f64 v[8:9], v[38:39], v[18:19], -v[8:9]
	v_fma_f64 v[16:17], v[40:41], v[18:19], v[16:17]
	v_add_f64 v[18:19], v[24:25], -v[28:29]
	v_add_f64 v[32:33], v[22:23], -v[6:7]
	ds_read_b128 v[2:5], v52
	v_fma_f64 v[12:13], v[12:13], -0.5, v[10:11]
	v_fma_f64 v[26:27], v[26:27], -0.5, v[20:21]
	v_add_f64 v[20:21], v[20:21], v[22:23]
	v_add_f64 v[10:11], v[10:11], v[24:25]
	;; [unrolled: 1-line block ×4, first 2 shown]
	v_add_f64 v[22:23], v[30:31], -v[8:9]
	v_fma_f64 v[38:39], v[32:33], s[0:1], v[12:13]
	v_fma_f64 v[40:41], v[18:19], s[0:1], v[26:27]
	;; [unrolled: 1-line block ×4, first 2 shown]
	s_waitcnt lgkmcnt(0)
	v_add_f64 v[26:27], v[2:3], v[30:31]
	v_add_f64 v[32:33], v[14:15], -v[16:17]
	v_add_f64 v[14:15], v[4:5], v[14:15]
	v_fma_f64 v[2:3], v[34:35], -0.5, v[2:3]
	v_fma_f64 v[4:5], v[36:37], -0.5, v[4:5]
	v_add_f64 v[6:7], v[20:21], v[6:7]
	v_add_f64 v[10:11], v[10:11], v[28:29]
	v_mul_f64 v[24:25], v[38:39], s[4:5]
	v_mul_f64 v[30:31], v[40:41], -0.5
	v_mul_f64 v[34:35], v[18:19], s[0:1]
	v_mul_f64 v[36:37], v[12:13], -0.5
	v_add_f64 v[8:9], v[26:27], v[8:9]
	v_add_f64 v[14:15], v[14:15], v[16:17]
	v_fma_f64 v[16:17], v[32:33], s[4:5], v[2:3]
	v_fma_f64 v[26:27], v[22:23], s[0:1], v[4:5]
	;; [unrolled: 1-line block ×4, first 2 shown]
	v_mul_lo_u32 v32, s10, v1
	v_mul_lo_u32 v33, s8, v0
	v_add_nc_u32_e32 v1, 36, v0
	v_add_nc_u32_e32 v2, 0x48, v0
	;; [unrolled: 1-line block ×5, first 2 shown]
	v_fma_f64 v[18:19], v[18:19], 0.5, v[24:25]
	v_fma_f64 v[24:25], v[12:13], s[4:5], v[30:31]
	v_fma_f64 v[28:29], v[38:39], 0.5, v[34:35]
	v_fma_f64 v[30:31], v[40:41], s[0:1], v[36:37]
	v_mul_lo_u32 v34, s8, v1
	v_mul_lo_u32 v35, s8, v2
	;; [unrolled: 1-line block ×4, first 2 shown]
	v_add_f64 v[0:1], v[8:9], v[6:7]
	v_add_f64 v[2:3], v[14:15], v[10:11]
	v_mul_lo_u32 v37, s8, v4
	v_add_f64 v[4:5], v[8:9], -v[6:7]
	v_add_f64 v[6:7], v[14:15], -v[10:11]
	s_lshl_b32 s0, s9, 4
	s_mov_b32 s4, s2
	s_mov_b32 s5, s3
	v_add_f64 v[8:9], v[16:17], v[18:19]
	v_add_f64 v[12:13], v[20:21], v[24:25]
	;; [unrolled: 1-line block ×4, first 2 shown]
	v_add_f64 v[16:17], v[16:17], -v[18:19]
	v_add_f64 v[18:19], v[26:27], -v[28:29]
	;; [unrolled: 1-line block ×4, first 2 shown]
	v_add_lshl_u32 v24, v32, v33, 4
	v_add_lshl_u32 v25, v32, v34, 4
	;; [unrolled: 1-line block ×6, first 2 shown]
	v_cndmask_b32_e32 v24, -1, v24, vcc_lo
	v_cndmask_b32_e32 v25, -1, v25, vcc_lo
	;; [unrolled: 1-line block ×6, first 2 shown]
	buffer_store_dwordx4 v[0:3], v24, s[4:7], s0 offen
	buffer_store_dwordx4 v[8:11], v25, s[4:7], s0 offen
	;; [unrolled: 1-line block ×6, first 2 shown]
	s_endpgm
	.section	.rodata,"a",@progbits
	.p2align	6, 0x0
	.amdhsa_kernel fft_rtc_fwd_len216_factors_6_6_6_wgs_324_tpt_36_dp_op_CI_CI_sbcc_dirReg_intrinsicReadWrite
		.amdhsa_group_segment_fixed_size 0
		.amdhsa_private_segment_fixed_size 0
		.amdhsa_kernarg_size 112
		.amdhsa_user_sgpr_count 6
		.amdhsa_user_sgpr_private_segment_buffer 1
		.amdhsa_user_sgpr_dispatch_ptr 0
		.amdhsa_user_sgpr_queue_ptr 0
		.amdhsa_user_sgpr_kernarg_segment_ptr 1
		.amdhsa_user_sgpr_dispatch_id 0
		.amdhsa_user_sgpr_flat_scratch_init 0
		.amdhsa_user_sgpr_private_segment_size 0
		.amdhsa_wavefront_size32 1
		.amdhsa_uses_dynamic_stack 0
		.amdhsa_system_sgpr_private_segment_wavefront_offset 0
		.amdhsa_system_sgpr_workgroup_id_x 1
		.amdhsa_system_sgpr_workgroup_id_y 0
		.amdhsa_system_sgpr_workgroup_id_z 0
		.amdhsa_system_sgpr_workgroup_info 0
		.amdhsa_system_vgpr_workitem_id 0
		.amdhsa_next_free_vgpr 53
		.amdhsa_next_free_sgpr 53
		.amdhsa_reserve_vcc 1
		.amdhsa_reserve_flat_scratch 0
		.amdhsa_float_round_mode_32 0
		.amdhsa_float_round_mode_16_64 0
		.amdhsa_float_denorm_mode_32 3
		.amdhsa_float_denorm_mode_16_64 3
		.amdhsa_dx10_clamp 1
		.amdhsa_ieee_mode 1
		.amdhsa_fp16_overflow 0
		.amdhsa_workgroup_processor_mode 1
		.amdhsa_memory_ordered 1
		.amdhsa_forward_progress 0
		.amdhsa_shared_vgpr_count 0
		.amdhsa_exception_fp_ieee_invalid_op 0
		.amdhsa_exception_fp_denorm_src 0
		.amdhsa_exception_fp_ieee_div_zero 0
		.amdhsa_exception_fp_ieee_overflow 0
		.amdhsa_exception_fp_ieee_underflow 0
		.amdhsa_exception_fp_ieee_inexact 0
		.amdhsa_exception_int_div_zero 0
	.end_amdhsa_kernel
	.text
.Lfunc_end0:
	.size	fft_rtc_fwd_len216_factors_6_6_6_wgs_324_tpt_36_dp_op_CI_CI_sbcc_dirReg_intrinsicReadWrite, .Lfunc_end0-fft_rtc_fwd_len216_factors_6_6_6_wgs_324_tpt_36_dp_op_CI_CI_sbcc_dirReg_intrinsicReadWrite
                                        ; -- End function
	.section	.AMDGPU.csdata,"",@progbits
; Kernel info:
; codeLenInByte = 4260
; NumSgprs: 55
; NumVgprs: 53
; ScratchSize: 0
; MemoryBound: 0
; FloatMode: 240
; IeeeMode: 1
; LDSByteSize: 0 bytes/workgroup (compile time only)
; SGPRBlocks: 6
; VGPRBlocks: 6
; NumSGPRsForWavesPerEU: 55
; NumVGPRsForWavesPerEU: 53
; Occupancy: 14
; WaveLimiterHint : 0
; COMPUTE_PGM_RSRC2:SCRATCH_EN: 0
; COMPUTE_PGM_RSRC2:USER_SGPR: 6
; COMPUTE_PGM_RSRC2:TRAP_HANDLER: 0
; COMPUTE_PGM_RSRC2:TGID_X_EN: 1
; COMPUTE_PGM_RSRC2:TGID_Y_EN: 0
; COMPUTE_PGM_RSRC2:TGID_Z_EN: 0
; COMPUTE_PGM_RSRC2:TIDIG_COMP_CNT: 0
	.text
	.p2alignl 6, 3214868480
	.fill 48, 4, 3214868480
	.type	__hip_cuid_d1f64492dfb90512,@object ; @__hip_cuid_d1f64492dfb90512
	.section	.bss,"aw",@nobits
	.globl	__hip_cuid_d1f64492dfb90512
__hip_cuid_d1f64492dfb90512:
	.byte	0                               ; 0x0
	.size	__hip_cuid_d1f64492dfb90512, 1

	.ident	"AMD clang version 19.0.0git (https://github.com/RadeonOpenCompute/llvm-project roc-6.4.0 25133 c7fe45cf4b819c5991fe208aaa96edf142730f1d)"
	.section	".note.GNU-stack","",@progbits
	.addrsig
	.addrsig_sym __hip_cuid_d1f64492dfb90512
	.amdgpu_metadata
---
amdhsa.kernels:
  - .args:
      - .actual_access:  read_only
        .address_space:  global
        .offset:         0
        .size:           8
        .value_kind:     global_buffer
      - .address_space:  global
        .offset:         8
        .size:           8
        .value_kind:     global_buffer
      - .offset:         16
        .size:           8
        .value_kind:     by_value
      - .actual_access:  read_only
        .address_space:  global
        .offset:         24
        .size:           8
        .value_kind:     global_buffer
      - .actual_access:  read_only
        .address_space:  global
        .offset:         32
        .size:           8
        .value_kind:     global_buffer
      - .actual_access:  read_only
        .address_space:  global
        .offset:         40
        .size:           8
        .value_kind:     global_buffer
      - .offset:         48
        .size:           8
        .value_kind:     by_value
      - .actual_access:  read_only
        .address_space:  global
        .offset:         56
        .size:           8
        .value_kind:     global_buffer
      - .actual_access:  read_only
        .address_space:  global
        .offset:         64
        .size:           8
        .value_kind:     global_buffer
      - .offset:         72
        .size:           4
        .value_kind:     by_value
      - .actual_access:  read_only
        .address_space:  global
        .offset:         80
        .size:           8
        .value_kind:     global_buffer
      - .actual_access:  read_only
        .address_space:  global
        .offset:         88
        .size:           8
        .value_kind:     global_buffer
      - .address_space:  global
        .offset:         96
        .size:           8
        .value_kind:     global_buffer
      - .address_space:  global
        .offset:         104
        .size:           8
        .value_kind:     global_buffer
    .group_segment_fixed_size: 0
    .kernarg_segment_align: 8
    .kernarg_segment_size: 112
    .language:       OpenCL C
    .language_version:
      - 2
      - 0
    .max_flat_workgroup_size: 324
    .name:           fft_rtc_fwd_len216_factors_6_6_6_wgs_324_tpt_36_dp_op_CI_CI_sbcc_dirReg_intrinsicReadWrite
    .private_segment_fixed_size: 0
    .sgpr_count:     55
    .sgpr_spill_count: 0
    .symbol:         fft_rtc_fwd_len216_factors_6_6_6_wgs_324_tpt_36_dp_op_CI_CI_sbcc_dirReg_intrinsicReadWrite.kd
    .uniform_work_group_size: 1
    .uses_dynamic_stack: false
    .vgpr_count:     53
    .vgpr_spill_count: 0
    .wavefront_size: 32
    .workgroup_processor_mode: 1
amdhsa.target:   amdgcn-amd-amdhsa--gfx1030
amdhsa.version:
  - 1
  - 2
...

	.end_amdgpu_metadata
